;; amdgpu-corpus repo=ROCm/rocFFT kind=compiled arch=gfx906 opt=O3
	.text
	.amdgcn_target "amdgcn-amd-amdhsa--gfx906"
	.amdhsa_code_object_version 6
	.protected	fft_rtc_fwd_len72_factors_3_3_8_wgs_64_tpt_8_halfLds_dim1_sp_op_CI_CI_unitstride_sbrr_R2C_dirReg ; -- Begin function fft_rtc_fwd_len72_factors_3_3_8_wgs_64_tpt_8_halfLds_dim1_sp_op_CI_CI_unitstride_sbrr_R2C_dirReg
	.globl	fft_rtc_fwd_len72_factors_3_3_8_wgs_64_tpt_8_halfLds_dim1_sp_op_CI_CI_unitstride_sbrr_R2C_dirReg
	.p2align	8
	.type	fft_rtc_fwd_len72_factors_3_3_8_wgs_64_tpt_8_halfLds_dim1_sp_op_CI_CI_unitstride_sbrr_R2C_dirReg,@function
fft_rtc_fwd_len72_factors_3_3_8_wgs_64_tpt_8_halfLds_dim1_sp_op_CI_CI_unitstride_sbrr_R2C_dirReg: ; @fft_rtc_fwd_len72_factors_3_3_8_wgs_64_tpt_8_halfLds_dim1_sp_op_CI_CI_unitstride_sbrr_R2C_dirReg
; %bb.0:
	s_load_dwordx2 s[0:1], s[4:5], 0x20
	s_load_dwordx2 s[8:9], s[4:5], 0x0
	v_lshrrev_b32_e32 v1, 3, v0
	v_lshl_or_b32 v26, s6, 3, v1
	v_mov_b32_e32 v27, 0
	s_waitcnt lgkmcnt(0)
	v_cmp_gt_u64_e32 vcc, s[0:1], v[26:27]
	v_cmp_le_u64_e64 s[0:1], s[0:1], v[26:27]
	v_and_b32_e32 v24, 7, v0
                                        ; implicit-def: $vgpr29
                                        ; implicit-def: $vgpr27
	s_and_saveexec_b64 s[2:3], s[0:1]
	s_xor_b64 s[0:1], exec, s[2:3]
; %bb.1:
	v_and_b32_e32 v24, 7, v0
	v_or_b32_e32 v29, 8, v24
	v_or_b32_e32 v27, 16, v24
; %bb.2:
	s_or_saveexec_b64 s[2:3], s[0:1]
	s_load_dwordx2 s[6:7], s[4:5], 0x18
	v_mul_u32_u24_e32 v0, 0x49, v1
	v_lshlrev_b32_e32 v0, 3, v0
	s_xor_b64 exec, exec, s[2:3]
	s_cbranch_execz .LBB0_4
; %bb.3:
	s_load_dwordx2 s[0:1], s[4:5], 0x10
	s_load_dwordx2 s[10:11], s[4:5], 0x50
	v_lshlrev_b32_e32 v21, 3, v24
	v_or_b32_e32 v29, 8, v24
	v_or_b32_e32 v27, 16, v24
	s_waitcnt lgkmcnt(0)
	s_load_dwordx2 s[0:1], s[0:1], 0x8
	s_waitcnt lgkmcnt(0)
	v_mad_u64_u32 v[1:2], s[12:13], s0, v26, 0
	v_mad_u64_u32 v[2:3], s[0:1], s1, v26, v[2:3]
	v_mov_b32_e32 v3, s11
	v_lshlrev_b64 v[1:2], 3, v[1:2]
	v_add_co_u32_e64 v1, s[0:1], s10, v1
	v_addc_co_u32_e64 v2, s[0:1], v3, v2, s[0:1]
	v_add_co_u32_e64 v1, s[0:1], v1, v21
	v_addc_co_u32_e64 v2, s[0:1], 0, v2, s[0:1]
	global_load_dwordx2 v[3:4], v[1:2], off
	global_load_dwordx2 v[5:6], v[1:2], off offset:64
	global_load_dwordx2 v[7:8], v[1:2], off offset:128
	;; [unrolled: 1-line block ×8, first 2 shown]
	v_add3_u32 v1, 0, v0, v21
	s_waitcnt vmcnt(7)
	ds_write2_b64 v1, v[3:4], v[5:6] offset1:8
	s_waitcnt vmcnt(5)
	ds_write2_b64 v1, v[7:8], v[9:10] offset0:16 offset1:24
	s_waitcnt vmcnt(3)
	ds_write2_b64 v1, v[11:12], v[13:14] offset0:32 offset1:40
	;; [unrolled: 2-line block ×3, first 2 shown]
	s_waitcnt vmcnt(0)
	ds_write_b64 v1, v[19:20] offset:512
.LBB0_4:
	s_or_b64 exec, exec, s[2:3]
	v_add_u32_e32 v38, 0, v0
	v_lshlrev_b32_e32 v25, 3, v24
	v_add_u32_e32 v39, v38, v25
	v_add3_u32 v28, 0, v25, v0
	s_waitcnt lgkmcnt(0)
	s_load_dwordx2 s[6:7], s[6:7], 0x8
	s_waitcnt lgkmcnt(0)
	; wave barrier
	s_waitcnt lgkmcnt(0)
	ds_read_b64 v[17:18], v39
	ds_read2_b64 v[1:4], v28 offset0:24 offset1:32
	ds_read2_b64 v[5:8], v28 offset0:40 offset1:48
	;; [unrolled: 1-line block ×4, first 2 shown]
	s_waitcnt lgkmcnt(0)
	; wave barrier
	s_waitcnt lgkmcnt(0)
	v_add_f32_e32 v19, v17, v1
	v_add_f32_e32 v20, v1, v7
	;; [unrolled: 1-line block ×4, first 2 shown]
	v_sub_f32_e32 v21, v2, v8
	v_sub_f32_e32 v30, v1, v7
	v_add_f32_e32 v1, v19, v7
	v_add_f32_e32 v2, v22, v8
	;; [unrolled: 1-line block ×4, first 2 shown]
	v_fma_f32 v17, -0.5, v20, v17
	v_fmac_f32_e32 v18, -0.5, v23
	v_add_f32_e32 v31, v9, v3
	v_add_f32_e32 v19, v5, v15
	v_sub_f32_e32 v22, v6, v16
	v_add_f32_e32 v37, v6, v16
	v_sub_f32_e32 v40, v5, v15
	v_add_f32_e32 v5, v7, v15
	v_add_f32_e32 v6, v8, v16
	v_mov_b32_e32 v7, v17
	v_mov_b32_e32 v8, v18
	v_add_f32_e32 v32, v3, v13
	v_add_f32_e32 v35, v4, v14
	v_sub_f32_e32 v36, v3, v13
	v_add_f32_e32 v3, v31, v13
	v_fmac_f32_e32 v7, 0x3f5db3d7, v21
	v_fmac_f32_e32 v8, 0xbf5db3d7, v30
	v_lshl_add_u32 v13, v24, 4, v28
	v_sub_f32_e32 v33, v4, v14
	ds_write2_b64 v13, v[1:2], v[7:8] offset1:1
	v_fma_f32 v1, -0.5, v32, v9
	v_fma_f32 v2, -0.5, v35, v10
	v_fmac_f32_e32 v17, 0xbf5db3d7, v21
	v_fmac_f32_e32 v18, 0x3f5db3d7, v30
	v_mov_b32_e32 v7, v1
	v_mov_b32_e32 v8, v2
	v_mad_i32_i24 v21, v29, 24, v38
	v_fmac_f32_e32 v1, 0xbf5db3d7, v33
	v_fmac_f32_e32 v2, 0x3f5db3d7, v36
	v_fma_f32 v11, -0.5, v19, v11
	v_fmac_f32_e32 v12, -0.5, v37
	v_add_f32_e32 v34, v10, v4
	ds_write_b64 v13, v[17:18] offset:16
	ds_write_b64 v21, v[1:2] offset:16
	v_mov_b32_e32 v1, v11
	v_mov_b32_e32 v2, v12
	v_add_f32_e32 v4, v34, v14
	v_fmac_f32_e32 v7, 0x3f5db3d7, v33
	v_fmac_f32_e32 v8, 0xbf5db3d7, v36
	;; [unrolled: 1-line block ×4, first 2 shown]
	v_mad_i32_i24 v23, v27, 24, v38
	s_movk_i32 s0, 0xab
	ds_write2_b64 v21, v[3:4], v[7:8] offset1:1
	ds_write2_b64 v23, v[5:6], v[1:2] offset1:1
	v_mul_lo_u16_sdwa v1, v24, s0 dst_sel:DWORD dst_unused:UNUSED_PAD src0_sel:BYTE_0 src1_sel:DWORD
	v_fmac_f32_e32 v11, 0xbf5db3d7, v22
	v_lshrrev_b16_e32 v22, 9, v1
	v_mul_lo_u16_e32 v1, 3, v22
	v_sub_u16_e32 v32, v24, v1
	v_mov_b32_e32 v9, 4
	v_fmac_f32_e32 v12, 0x3f5db3d7, v40
	v_lshlrev_b32_sdwa v1, v9, v32 dst_sel:DWORD dst_unused:UNUSED_PAD src0_sel:DWORD src1_sel:BYTE_0
	ds_write_b64 v23, v[11:12] offset:16
	s_waitcnt lgkmcnt(0)
	; wave barrier
	s_waitcnt lgkmcnt(0)
	global_load_dwordx4 v[1:4], v1, s[8:9]
	v_mul_lo_u16_sdwa v5, v29, s0 dst_sel:DWORD dst_unused:UNUSED_PAD src0_sel:BYTE_0 src1_sel:DWORD
	v_lshrrev_b16_e32 v33, 9, v5
	v_mul_lo_u16_e32 v5, 3, v33
	v_sub_u16_e32 v34, v29, v5
	v_lshlrev_b32_sdwa v5, v9, v34 dst_sel:DWORD dst_unused:UNUSED_PAD src0_sel:DWORD src1_sel:BYTE_0
	global_load_dwordx4 v[5:8], v5, s[8:9]
	v_mul_lo_u16_sdwa v10, v27, s0 dst_sel:DWORD dst_unused:UNUSED_PAD src0_sel:BYTE_0 src1_sel:DWORD
	v_lshrrev_b16_e32 v35, 9, v10
	v_mul_lo_u16_e32 v10, 3, v35
	v_sub_u16_e32 v36, v27, v10
	v_lshlrev_b32_sdwa v9, v9, v36 dst_sel:DWORD dst_unused:UNUSED_PAD src0_sel:DWORD src1_sel:BYTE_0
	global_load_dwordx4 v[9:12], v9, s[8:9]
	ds_read2_b64 v[13:16], v28 offset0:24 offset1:32
	ds_read2_b64 v[17:20], v28 offset0:40 offset1:48
	s_movk_i32 s0, 0x48
	v_cmp_eq_u32_e64 s[2:3], 0, v24
	s_waitcnt vmcnt(2) lgkmcnt(1)
	v_mul_f32_e32 v30, v2, v14
	v_fma_f32 v37, v1, v13, -v30
	v_mul_f32_e32 v13, v2, v13
	v_fmac_f32_e32 v13, v1, v14
	s_waitcnt lgkmcnt(0)
	v_mul_f32_e32 v1, v4, v20
	v_fma_f32 v14, v3, v19, -v1
	v_mul_f32_e32 v19, v4, v19
	v_fmac_f32_e32 v19, v3, v20
	ds_read2_b64 v[1:4], v28 offset0:56 offset1:64
	s_waitcnt vmcnt(1)
	v_mul_f32_e32 v20, v6, v16
	v_fma_f32 v20, v5, v15, -v20
	v_mul_f32_e32 v15, v6, v15
	v_fmac_f32_e32 v15, v5, v16
	s_waitcnt lgkmcnt(0)
	v_mul_f32_e32 v5, v8, v2
	v_fma_f32 v16, v7, v1, -v5
	v_mul_f32_e32 v1, v8, v1
	v_fmac_f32_e32 v1, v7, v2
	s_waitcnt vmcnt(0)
	v_mul_f32_e32 v2, v10, v18
	v_fma_f32 v40, v9, v17, -v2
	v_mul_f32_e32 v17, v10, v17
	v_mul_f32_e32 v2, v4, v12
	;; [unrolled: 1-line block ×3, first 2 shown]
	v_fmac_f32_e32 v17, v9, v18
	v_fma_f32 v18, v3, v11, -v2
	v_fmac_f32_e32 v12, v4, v11
	ds_read_b64 v[3:4], v39
	v_lshlrev_b32_e32 v5, 4, v27
	v_lshlrev_b32_e32 v2, 4, v29
	v_sub_u32_e32 v5, v23, v5
	v_sub_u32_e32 v2, v21, v2
	ds_read_b64 v[30:31], v5
	ds_read_b64 v[5:6], v2
	s_waitcnt lgkmcnt(2)
	v_add_f32_e32 v7, v3, v37
	v_add_f32_e32 v8, v37, v14
	v_fma_f32 v3, -0.5, v8, v3
	v_add_f32_e32 v7, v7, v14
	v_add_f32_e32 v8, v4, v13
	v_sub_f32_e32 v11, v13, v19
	v_add_f32_e32 v9, v13, v19
	v_sub_f32_e32 v13, v37, v14
	v_mov_b32_e32 v14, 3
	v_fmac_f32_e32 v4, -0.5, v9
	v_mad_u32_u24 v9, v22, s0, 0
	v_lshlrev_b32_sdwa v10, v14, v32 dst_sel:DWORD dst_unused:UNUSED_PAD src0_sel:DWORD src1_sel:BYTE_0
	v_add_f32_e32 v8, v8, v19
	v_add3_u32 v19, v9, v10, v0
	v_mov_b32_e32 v9, v3
	v_mov_b32_e32 v10, v4
	v_fmac_f32_e32 v3, 0xbf5db3d7, v11
	v_fmac_f32_e32 v4, 0x3f5db3d7, v13
	s_waitcnt lgkmcnt(0)
	; wave barrier
	s_waitcnt lgkmcnt(0)
	ds_write_b64 v19, v[3:4] offset:48
	v_add_f32_e32 v4, v20, v16
	v_fmac_f32_e32 v9, 0x3f5db3d7, v11
	v_fmac_f32_e32 v10, 0xbf5db3d7, v13
	v_add_f32_e32 v3, v5, v20
	v_fma_f32 v5, -0.5, v4, v5
	v_add_f32_e32 v4, v6, v15
	ds_write2_b64 v19, v[7:8], v[9:10] offset1:3
	v_add_f32_e32 v4, v4, v1
	v_sub_f32_e32 v9, v15, v1
	v_add_f32_e32 v1, v15, v1
	v_fmac_f32_e32 v6, -0.5, v1
	v_mad_u32_u24 v7, v33, s0, 0
	v_lshlrev_b32_sdwa v8, v14, v34 dst_sel:DWORD dst_unused:UNUSED_PAD src0_sel:DWORD src1_sel:BYTE_0
	v_sub_f32_e32 v1, v20, v16
	v_add3_u32 v10, v7, v8, v0
	v_mov_b32_e32 v7, v5
	v_mov_b32_e32 v8, v6
	v_add_f32_e32 v3, v3, v16
	v_fmac_f32_e32 v7, 0x3f5db3d7, v9
	v_fmac_f32_e32 v8, 0xbf5db3d7, v1
	;; [unrolled: 1-line block ×4, first 2 shown]
	v_add_f32_e32 v1, v30, v40
	ds_write2_b64 v10, v[3:4], v[7:8] offset1:3
	ds_write_b64 v10, v[5:6] offset:48
	v_add_f32_e32 v3, v40, v18
	v_add_f32_e32 v5, v1, v18
	;; [unrolled: 1-line block ×3, first 2 shown]
	v_fma_f32 v30, -0.5, v3, v30
	v_add_f32_e32 v6, v1, v12
	v_add_f32_e32 v1, v17, v12
	v_sub_f32_e32 v4, v17, v12
	v_mov_b32_e32 v3, v30
	v_fmac_f32_e32 v31, -0.5, v1
	v_fmac_f32_e32 v3, 0x3f5db3d7, v4
	v_fmac_f32_e32 v30, 0xbf5db3d7, v4
	v_sub_f32_e32 v1, v40, v18
	v_mov_b32_e32 v4, v31
	v_fmac_f32_e32 v4, 0xbf5db3d7, v1
	v_fmac_f32_e32 v31, 0x3f5db3d7, v1
	v_lshlrev_b32_sdwa v1, v14, v36 dst_sel:DWORD dst_unused:UNUSED_PAD src0_sel:DWORD src1_sel:BYTE_0
	v_mad_u32_u24 v7, v35, s0, 0
	v_add3_u32 v0, v7, v1, v0
	ds_write2_b64 v0, v[5:6], v[3:4] offset1:3
	ds_write_b64 v0, v[30:31] offset:48
	s_waitcnt lgkmcnt(0)
	; wave barrier
	s_waitcnt lgkmcnt(0)
	ds_read_b64 v[34:35], v39
	ds_read_b64 v[36:37], v28 offset:504
	ds_read2_b64 v[20:23], v28 offset0:9 offset1:18
	ds_read2_b64 v[16:19], v28 offset0:27 offset1:36
	;; [unrolled: 1-line block ×3, first 2 shown]
	v_cmp_ne_u32_e64 s[0:1], 0, v24
                                        ; implicit-def: $vgpr33
                                        ; implicit-def: $vgpr1
                                        ; implicit-def: $vgpr5
                                        ; implicit-def: $vgpr9
	s_and_saveexec_b64 s[10:11], s[2:3]
	s_cbranch_execz .LBB0_6
; %bb.5:
	ds_read_b64 v[30:31], v2
	ds_read2_b32 v[32:33], v38 offset0:34 offset1:35
	ds_read2_b64 v[0:3], v38 offset0:26 offset1:35
	ds_read2_b64 v[4:7], v38 offset0:44 offset1:53
	;; [unrolled: 1-line block ×3, first 2 shown]
.LBB0_6:
	s_or_b64 exec, exec, s[10:11]
	v_mul_u32_u24_e32 v40, 7, v24
	v_lshlrev_b32_e32 v55, 3, v40
	global_load_dwordx4 v[41:44], v55, s[8:9] offset:48
	global_load_dwordx4 v[45:48], v55, s[8:9] offset:64
	;; [unrolled: 1-line block ×3, first 2 shown]
	global_load_dwordx2 v[53:54], v55, s[8:9] offset:96
	s_waitcnt lgkmcnt(0)
	; wave barrier
	s_waitcnt vmcnt(3) lgkmcnt(0)
	v_mul_f32_e32 v55, v42, v21
	v_mul_f32_e32 v42, v42, v20
	v_mul_f32_e32 v56, v44, v23
	v_mul_f32_e32 v44, v44, v22
	s_waitcnt vmcnt(2)
	v_mul_f32_e32 v57, v46, v17
	v_mul_f32_e32 v46, v46, v16
	v_mul_f32_e32 v58, v48, v19
	v_mul_f32_e32 v48, v48, v18
	s_waitcnt vmcnt(1)
	;; [unrolled: 5-line block ×3, first 2 shown]
	v_mul_f32_e32 v61, v54, v37
	v_mul_f32_e32 v54, v54, v36
	v_fmac_f32_e32 v42, v41, v21
	v_fma_f32 v21, v43, v22, -v56
	v_fmac_f32_e32 v44, v43, v23
	v_fmac_f32_e32 v46, v45, v17
	v_fma_f32 v17, v47, v18, -v58
	v_fmac_f32_e32 v48, v47, v19
	;; [unrolled: 3-line block ×3, first 2 shown]
	v_fma_f32 v20, v41, v20, -v55
	v_fma_f32 v16, v45, v16, -v57
	;; [unrolled: 1-line block ×4, first 2 shown]
	v_fmac_f32_e32 v54, v53, v37
	v_sub_f32_e32 v15, v34, v17
	v_sub_f32_e32 v17, v35, v48
	;; [unrolled: 1-line block ×8, first 2 shown]
	v_fma_f32 v36, v42, 2.0, -v19
	v_sub_f32_e32 v41, v15, v18
	v_add_f32_e32 v42, v17, v13
	v_fma_f32 v23, v34, 2.0, -v15
	v_fma_f32 v34, v35, 2.0, -v17
	;; [unrolled: 1-line block ×7, first 2 shown]
	v_sub_f32_e32 v22, v12, v22
	v_add_f32_e32 v43, v19, v14
	v_fma_f32 v44, v15, 2.0, -v41
	v_fma_f32 v45, v17, 2.0, -v42
	v_sub_f32_e32 v21, v23, v21
	v_sub_f32_e32 v35, v34, v35
	v_sub_f32_e32 v17, v20, v16
	v_sub_f32_e32 v16, v36, v37
	v_fma_f32 v37, v12, 2.0, -v22
	v_fma_f32 v46, v19, 2.0, -v43
	v_mov_b32_e32 v14, v44
	v_mov_b32_e32 v15, v45
	;; [unrolled: 1-line block ×4, first 2 shown]
	v_fma_f32 v23, v23, 2.0, -v21
	v_fma_f32 v34, v34, 2.0, -v35
	;; [unrolled: 1-line block ×4, first 2 shown]
	v_fmac_f32_e32 v14, 0xbf3504f3, v37
	v_fmac_f32_e32 v15, 0xbf3504f3, v46
	;; [unrolled: 1-line block ×4, first 2 shown]
	v_sub_f32_e32 v18, v23, v18
	v_sub_f32_e32 v19, v34, v19
	v_fmac_f32_e32 v14, 0xbf3504f3, v46
	v_fmac_f32_e32 v15, 0x3f3504f3, v37
	v_sub_f32_e32 v16, v21, v16
	v_add_f32_e32 v17, v35, v17
	v_fmac_f32_e32 v12, 0xbf3504f3, v43
	v_fmac_f32_e32 v13, 0x3f3504f3, v22
	v_fma_f32 v22, v23, 2.0, -v18
	v_fma_f32 v23, v34, 2.0, -v19
	;; [unrolled: 1-line block ×8, first 2 shown]
	ds_write2_b64 v28, v[22:23], v[36:37] offset1:9
	ds_write2_b64 v28, v[20:21], v[34:35] offset0:18 offset1:27
	ds_write2_b64 v28, v[18:19], v[14:15] offset0:36 offset1:45
	;; [unrolled: 1-line block ×3, first 2 shown]
	s_and_saveexec_b64 s[10:11], s[2:3]
	s_cbranch_execz .LBB0_8
; %bb.7:
	v_add_u32_e32 v12, -7, v40
	v_cndmask_b32_e64 v12, v12, 56, s[2:3]
	v_mov_b32_e32 v13, 0
	v_lshlrev_b64 v[12:13], 3, v[12:13]
	v_mov_b32_e32 v14, s9
	v_add_co_u32_e64 v34, s[2:3], s8, v12
	v_addc_co_u32_e64 v35, s[2:3], v14, v13, s[2:3]
	global_load_dwordx4 v[12:15], v[34:35], off offset:48
	global_load_dwordx4 v[16:19], v[34:35], off offset:80
	;; [unrolled: 1-line block ×3, first 2 shown]
	global_load_dwordx2 v[36:37], v[34:35], off offset:96
	s_waitcnt vmcnt(3)
	v_mul_f32_e32 v28, v1, v15
	s_waitcnt vmcnt(2)
	v_mul_f32_e32 v34, v9, v19
	;; [unrolled: 2-line block ×3, first 2 shown]
	v_mul_f32_e32 v40, v33, v13
	v_mul_f32_e32 v41, v7, v17
	;; [unrolled: 1-line block ×3, first 2 shown]
	s_waitcnt vmcnt(0)
	v_mul_f32_e32 v43, v10, v37
	v_mul_f32_e32 v21, v3, v21
	;; [unrolled: 1-line block ×8, first 2 shown]
	v_fma_f32 v0, v0, v14, -v28
	v_fma_f32 v8, v8, v18, -v34
	v_fmac_f32_e32 v35, v5, v22
	v_fma_f32 v5, v32, v12, -v40
	v_fma_f32 v6, v6, v16, -v41
	v_fmac_f32_e32 v42, v3, v20
	v_fma_f32 v2, v2, v20, -v21
	v_fma_f32 v3, v10, v36, -v37
	;; [unrolled: 1-line block ×3, first 2 shown]
	v_fmac_f32_e32 v15, v1, v14
	v_fmac_f32_e32 v19, v9, v18
	;; [unrolled: 1-line block ×5, first 2 shown]
	v_sub_f32_e32 v1, v0, v8
	v_sub_f32_e32 v7, v31, v35
	;; [unrolled: 1-line block ×8, first 2 shown]
	v_add_f32_e32 v11, v7, v1
	v_sub_f32_e32 v16, v4, v10
	v_fma_f32 v17, v31, 2.0, -v7
	v_fma_f32 v10, v15, 2.0, -v10
	;; [unrolled: 1-line block ×4, first 2 shown]
	v_sub_f32_e32 v12, v6, v8
	v_add_f32_e32 v14, v9, v3
	v_fma_f32 v15, v30, 2.0, -v4
	v_fma_f32 v3, v0, 2.0, -v1
	;; [unrolled: 1-line block ×4, first 2 shown]
	v_sub_f32_e32 v8, v17, v10
	v_sub_f32_e32 v19, v18, v2
	v_fma_f32 v21, v7, 2.0, -v11
	v_fma_f32 v28, v4, 2.0, -v16
	v_sub_f32_e32 v10, v15, v3
	v_sub_f32_e32 v20, v13, v5
	v_fma_f32 v22, v6, 2.0, -v12
	v_fma_f32 v23, v9, 2.0, -v14
	v_add_f32_e32 v3, v8, v19
	v_mov_b32_e32 v5, v21
	v_mov_b32_e32 v4, v28
	v_mov_b32_e32 v1, v11
	v_mov_b32_e32 v0, v16
	v_sub_f32_e32 v2, v10, v20
	v_fma_f32 v17, v17, 2.0, -v8
	v_fma_f32 v9, v13, 2.0, -v20
	;; [unrolled: 1-line block ×4, first 2 shown]
	v_fmac_f32_e32 v5, 0xbf3504f3, v23
	v_fmac_f32_e32 v4, 0xbf3504f3, v22
	v_fma_f32 v8, v18, 2.0, -v19
	v_fmac_f32_e32 v1, 0x3f3504f3, v14
	v_fmac_f32_e32 v0, 0x3f3504f3, v12
	v_sub_f32_e32 v9, v17, v9
	v_fmac_f32_e32 v5, 0x3f3504f3, v22
	v_fmac_f32_e32 v4, 0xbf3504f3, v23
	v_sub_f32_e32 v8, v20, v8
	v_fmac_f32_e32 v1, 0x3f3504f3, v12
	v_fmac_f32_e32 v0, 0xbf3504f3, v14
	v_fma_f32 v13, v17, 2.0, -v9
	v_fma_f32 v15, v21, 2.0, -v5
	;; [unrolled: 1-line block ×7, first 2 shown]
	ds_write2_b64 v38, v[12:13], v[14:15] offset0:8 offset1:17
	ds_write2_b64 v38, v[6:7], v[10:11] offset0:26 offset1:35
	;; [unrolled: 1-line block ×4, first 2 shown]
.LBB0_8:
	s_or_b64 exec, exec, s[10:11]
	s_waitcnt lgkmcnt(0)
	; wave barrier
	s_waitcnt lgkmcnt(0)
	ds_read_b64 v[4:5], v39
	v_sub_u32_e32 v6, v38, v25
                                        ; implicit-def: $vgpr1
                                        ; implicit-def: $vgpr7
                                        ; implicit-def: $vgpr2_vgpr3
	s_and_saveexec_b64 s[2:3], s[0:1]
	s_xor_b64 s[2:3], exec, s[2:3]
	s_cbranch_execz .LBB0_10
; %bb.9:
	v_mov_b32_e32 v25, 0
	v_lshlrev_b64 v[0:1], 3, v[24:25]
	v_mov_b32_e32 v2, s9
	v_add_co_u32_e64 v0, s[0:1], s8, v0
	v_addc_co_u32_e64 v1, s[0:1], v2, v1, s[0:1]
	global_load_dwordx2 v[0:1], v[0:1], off offset:552
	ds_read_b64 v[2:3], v6 offset:576
	s_waitcnt lgkmcnt(0)
	v_add_f32_e32 v8, v2, v4
	v_sub_f32_e32 v2, v4, v2
	v_add_f32_e32 v7, v3, v5
	v_sub_f32_e32 v3, v5, v3
	v_mul_f32_e32 v2, 0.5, v2
	v_mul_f32_e32 v4, 0.5, v7
	;; [unrolled: 1-line block ×3, first 2 shown]
	s_waitcnt vmcnt(0)
	v_mul_f32_e32 v5, v1, v2
	v_fma_f32 v7, v4, v1, v3
	v_fma_f32 v1, v4, v1, -v3
	v_fma_f32 v3, 0.5, v8, v5
	v_fmac_f32_e32 v3, v0, v4
	v_fma_f32 v7, -v0, v2, v7
	v_fma_f32 v5, v8, 0.5, -v5
	v_fma_f32 v1, -v0, v2, v1
	ds_write_b32 v39, v3
	v_mov_b32_e32 v2, v24
	v_fma_f32 v0, -v0, v4, v5
	v_mov_b32_e32 v3, v25
                                        ; implicit-def: $vgpr4_vgpr5
.LBB0_10:
	s_andn2_saveexec_b64 s[0:1], s[2:3]
	s_cbranch_execz .LBB0_12
; %bb.11:
	ds_read_b32 v1, v38 offset:292
	s_waitcnt lgkmcnt(1)
	v_add_f32_e32 v7, v4, v5
	v_mov_b32_e32 v2, 0
	ds_write_b32 v39, v7
	v_mov_b32_e32 v7, 0
	s_waitcnt lgkmcnt(1)
	v_xor_b32_e32 v1, 0x80000000, v1
	v_sub_f32_e32 v0, v4, v5
	v_mov_b32_e32 v3, 0
	ds_write_b32 v38, v1 offset:292
	v_mov_b32_e32 v1, v7
.LBB0_12:
	s_or_b64 exec, exec, s[0:1]
	v_mov_b32_e32 v30, 0
	s_waitcnt lgkmcnt(0)
	v_lshlrev_b64 v[4:5], 3, v[29:30]
	v_mov_b32_e32 v8, s9
	v_add_co_u32_e64 v4, s[0:1], s8, v4
	v_addc_co_u32_e64 v5, s[0:1], v8, v5, s[0:1]
	global_load_dwordx2 v[4:5], v[4:5], off offset:552
	v_mov_b32_e32 v28, v30
	v_lshlrev_b64 v[8:9], 3, v[27:28]
	v_mov_b32_e32 v10, s9
	v_add_co_u32_e64 v8, s[0:1], s8, v8
	v_addc_co_u32_e64 v9, s[0:1], v10, v9, s[0:1]
	global_load_dwordx2 v[8:9], v[8:9], off offset:552
	s_add_u32 s0, s8, 0x228
	v_lshlrev_b64 v[2:3], 3, v[2:3]
	s_addc_u32 s1, s9, 0
	v_mov_b32_e32 v10, s1
	v_add_co_u32_e64 v2, s[0:1], s0, v2
	v_addc_co_u32_e64 v3, s[0:1], v10, v3, s[0:1]
	global_load_dwordx2 v[10:11], v[2:3], off offset:192
	ds_write_b32 v39, v7 offset:4
	ds_write_b64 v6, v[0:1] offset:576
	v_lshl_add_u32 v7, v29, 3, v38
	ds_read_b64 v[0:1], v7
	ds_read_b64 v[12:13], v6 offset:512
	v_lshl_add_u32 v14, v27, 3, v38
	s_waitcnt lgkmcnt(0)
	v_add_f32_e32 v15, v0, v12
	v_sub_f32_e32 v0, v0, v12
	v_add_f32_e32 v16, v1, v13
	v_sub_f32_e32 v1, v1, v13
	v_mul_f32_e32 v13, 0.5, v0
	v_mul_f32_e32 v12, 0.5, v16
	;; [unrolled: 1-line block ×3, first 2 shown]
	s_waitcnt vmcnt(2)
	v_mul_f32_e32 v16, v5, v13
	v_fma_f32 v1, v12, v5, v0
	v_fma_f32 v5, v12, v5, -v0
	v_fma_f32 v0, 0.5, v15, v16
	v_fma_f32 v1, -v4, v13, v1
	v_fma_f32 v15, v15, 0.5, -v16
	v_fmac_f32_e32 v0, v4, v12
	v_fma_f32 v5, -v4, v13, v5
	v_fma_f32 v4, -v4, v12, v15
	ds_write_b64 v7, v[0:1]
	ds_write_b64 v6, v[4:5] offset:512
	ds_read_b64 v[0:1], v14
	ds_read_b64 v[4:5], v6 offset:448
	s_waitcnt lgkmcnt(0)
	v_add_f32_e32 v7, v0, v4
	v_sub_f32_e32 v0, v0, v4
	v_add_f32_e32 v12, v1, v5
	v_sub_f32_e32 v1, v1, v5
	v_mul_f32_e32 v5, 0.5, v0
	v_mul_f32_e32 v4, 0.5, v12
	v_mul_f32_e32 v0, 0.5, v1
	s_waitcnt vmcnt(1)
	v_mul_f32_e32 v12, v9, v5
	v_fma_f32 v1, v4, v9, v0
	v_fma_f32 v9, v4, v9, -v0
	v_fma_f32 v0, 0.5, v7, v12
	v_fma_f32 v1, -v8, v5, v1
	v_fma_f32 v7, v7, 0.5, -v12
	v_fmac_f32_e32 v0, v8, v4
	v_fma_f32 v5, -v8, v5, v9
	v_fma_f32 v4, -v8, v4, v7
	ds_write_b64 v14, v[0:1]
	ds_write_b64 v6, v[4:5] offset:448
	ds_read_b64 v[0:1], v39 offset:192
	ds_read_b64 v[4:5], v6 offset:384
	v_or_b32_e32 v7, 32, v24
	v_cmp_gt_u32_e64 s[0:1], 36, v7
	s_waitcnt lgkmcnt(0)
	v_add_f32_e32 v8, v0, v4
	v_sub_f32_e32 v0, v0, v4
	v_add_f32_e32 v9, v1, v5
	v_sub_f32_e32 v1, v1, v5
	v_mul_f32_e32 v5, 0.5, v0
	v_mul_f32_e32 v4, 0.5, v9
	;; [unrolled: 1-line block ×3, first 2 shown]
	s_waitcnt vmcnt(0)
	v_mul_f32_e32 v9, v11, v5
	v_fma_f32 v1, v4, v11, v0
	v_fma_f32 v11, v4, v11, -v0
	v_fma_f32 v0, 0.5, v8, v9
	v_fma_f32 v1, -v10, v5, v1
	v_fma_f32 v8, v8, 0.5, -v9
	v_fmac_f32_e32 v0, v10, v4
	v_fma_f32 v5, -v10, v5, v11
	v_fma_f32 v4, -v10, v4, v8
	ds_write_b64 v39, v[0:1] offset:192
	ds_write_b64 v6, v[4:5] offset:384
	s_and_saveexec_b64 s[2:3], s[0:1]
	s_cbranch_execz .LBB0_14
; %bb.13:
	global_load_dwordx2 v[0:1], v[2:3], off offset:256
	ds_read_b64 v[2:3], v39 offset:256
	ds_read_b64 v[4:5], v6 offset:320
	s_waitcnt lgkmcnt(0)
	v_add_f32_e32 v7, v2, v4
	v_sub_f32_e32 v2, v2, v4
	v_add_f32_e32 v8, v3, v5
	v_sub_f32_e32 v3, v3, v5
	v_mul_f32_e32 v4, 0.5, v2
	v_mul_f32_e32 v5, 0.5, v8
	;; [unrolled: 1-line block ×3, first 2 shown]
	s_waitcnt vmcnt(0)
	v_mul_f32_e32 v3, v1, v4
	v_fma_f32 v8, v5, v1, v2
	v_fma_f32 v9, v5, v1, -v2
	v_fma_f32 v1, 0.5, v7, v3
	v_fma_f32 v2, -v0, v4, v8
	v_fma_f32 v3, v7, 0.5, -v3
	v_fmac_f32_e32 v1, v0, v5
	v_fma_f32 v4, -v0, v4, v9
	v_fma_f32 v3, -v0, v5, v3
	ds_write_b64 v39, v[1:2] offset:256
	ds_write_b64 v6, v[3:4] offset:320
.LBB0_14:
	s_or_b64 exec, exec, s[2:3]
	s_waitcnt lgkmcnt(0)
	; wave barrier
	s_waitcnt lgkmcnt(0)
	s_and_saveexec_b64 s[0:1], vcc
	s_cbranch_execz .LBB0_17
; %bb.15:
	v_mad_u64_u32 v[0:1], s[0:1], s6, v26, 0
	s_load_dwordx2 s[0:1], s[4:5], 0x58
	v_mov_b32_e32 v25, 0
	v_mad_u64_u32 v[1:2], s[2:3], s7, v26, v[1:2]
	v_lshl_add_u32 v2, v24, 3, v38
	ds_read2_b64 v[3:6], v2 offset1:8
	v_lshlrev_b64 v[0:1], 3, v[0:1]
	s_waitcnt lgkmcnt(0)
	v_mov_b32_e32 v7, s1
	v_add_co_u32_e32 v0, vcc, s0, v0
	v_addc_co_u32_e32 v1, vcc, v7, v1, vcc
	v_lshlrev_b64 v[7:8], 3, v[24:25]
	v_add_co_u32_e32 v7, vcc, v0, v7
	v_addc_co_u32_e32 v8, vcc, v1, v8, vcc
	global_store_dwordx2 v[7:8], v[3:4], off
	v_add_u32_e32 v3, 8, v24
	v_mov_b32_e32 v4, v25
	v_lshlrev_b64 v[3:4], 3, v[3:4]
	v_add_u32_e32 v7, 16, v24
	v_add_co_u32_e32 v3, vcc, v0, v3
	v_addc_co_u32_e32 v4, vcc, v1, v4, vcc
	global_store_dwordx2 v[3:4], v[5:6], off
	v_mov_b32_e32 v8, v25
	ds_read2_b64 v[3:6], v2 offset0:16 offset1:24
	v_lshlrev_b64 v[7:8], 3, v[7:8]
	v_add_co_u32_e32 v7, vcc, v0, v7
	v_addc_co_u32_e32 v8, vcc, v1, v8, vcc
	s_waitcnt lgkmcnt(0)
	global_store_dwordx2 v[7:8], v[3:4], off
	v_add_u32_e32 v3, 24, v24
	v_mov_b32_e32 v4, v25
	v_lshlrev_b64 v[3:4], 3, v[3:4]
	v_add_u32_e32 v7, 32, v24
	v_add_co_u32_e32 v3, vcc, v0, v3
	v_addc_co_u32_e32 v4, vcc, v1, v4, vcc
	global_store_dwordx2 v[3:4], v[5:6], off
	v_mov_b32_e32 v8, v25
	ds_read2_b64 v[3:6], v2 offset0:32 offset1:40
	v_lshlrev_b64 v[7:8], 3, v[7:8]
	v_add_co_u32_e32 v7, vcc, v0, v7
	v_addc_co_u32_e32 v8, vcc, v1, v8, vcc
	s_waitcnt lgkmcnt(0)
	;; [unrolled: 14-line block ×3, first 2 shown]
	global_store_dwordx2 v[7:8], v[3:4], off
	v_add_u32_e32 v3, 56, v24
	v_mov_b32_e32 v4, v25
	v_lshlrev_b64 v[3:4], 3, v[3:4]
	v_add_co_u32_e32 v3, vcc, v0, v3
	v_addc_co_u32_e32 v4, vcc, v1, v4, vcc
	global_store_dwordx2 v[3:4], v[5:6], off
	v_add_u32_e32 v3, 64, v24
	v_mov_b32_e32 v4, v25
	ds_read_b64 v[5:6], v2 offset:512
	v_lshlrev_b64 v[3:4], 3, v[3:4]
	v_add_co_u32_e32 v3, vcc, v0, v3
	v_addc_co_u32_e32 v4, vcc, v1, v4, vcc
	v_cmp_eq_u32_e32 vcc, 7, v24
	s_waitcnt lgkmcnt(0)
	global_store_dwordx2 v[3:4], v[5:6], off
	s_and_b64 exec, exec, vcc
	s_cbranch_execz .LBB0_17
; %bb.16:
	ds_read_b64 v[2:3], v2 offset:520
	s_waitcnt lgkmcnt(0)
	global_store_dwordx2 v[0:1], v[2:3], off offset:576
.LBB0_17:
	s_endpgm
	.section	.rodata,"a",@progbits
	.p2align	6, 0x0
	.amdhsa_kernel fft_rtc_fwd_len72_factors_3_3_8_wgs_64_tpt_8_halfLds_dim1_sp_op_CI_CI_unitstride_sbrr_R2C_dirReg
		.amdhsa_group_segment_fixed_size 0
		.amdhsa_private_segment_fixed_size 0
		.amdhsa_kernarg_size 96
		.amdhsa_user_sgpr_count 6
		.amdhsa_user_sgpr_private_segment_buffer 1
		.amdhsa_user_sgpr_dispatch_ptr 0
		.amdhsa_user_sgpr_queue_ptr 0
		.amdhsa_user_sgpr_kernarg_segment_ptr 1
		.amdhsa_user_sgpr_dispatch_id 0
		.amdhsa_user_sgpr_flat_scratch_init 0
		.amdhsa_user_sgpr_private_segment_size 0
		.amdhsa_uses_dynamic_stack 0
		.amdhsa_system_sgpr_private_segment_wavefront_offset 0
		.amdhsa_system_sgpr_workgroup_id_x 1
		.amdhsa_system_sgpr_workgroup_id_y 0
		.amdhsa_system_sgpr_workgroup_id_z 0
		.amdhsa_system_sgpr_workgroup_info 0
		.amdhsa_system_vgpr_workitem_id 0
		.amdhsa_next_free_vgpr 62
		.amdhsa_next_free_sgpr 14
		.amdhsa_reserve_vcc 1
		.amdhsa_reserve_flat_scratch 0
		.amdhsa_float_round_mode_32 0
		.amdhsa_float_round_mode_16_64 0
		.amdhsa_float_denorm_mode_32 3
		.amdhsa_float_denorm_mode_16_64 3
		.amdhsa_dx10_clamp 1
		.amdhsa_ieee_mode 1
		.amdhsa_fp16_overflow 0
		.amdhsa_exception_fp_ieee_invalid_op 0
		.amdhsa_exception_fp_denorm_src 0
		.amdhsa_exception_fp_ieee_div_zero 0
		.amdhsa_exception_fp_ieee_overflow 0
		.amdhsa_exception_fp_ieee_underflow 0
		.amdhsa_exception_fp_ieee_inexact 0
		.amdhsa_exception_int_div_zero 0
	.end_amdhsa_kernel
	.text
.Lfunc_end0:
	.size	fft_rtc_fwd_len72_factors_3_3_8_wgs_64_tpt_8_halfLds_dim1_sp_op_CI_CI_unitstride_sbrr_R2C_dirReg, .Lfunc_end0-fft_rtc_fwd_len72_factors_3_3_8_wgs_64_tpt_8_halfLds_dim1_sp_op_CI_CI_unitstride_sbrr_R2C_dirReg
                                        ; -- End function
	.section	.AMDGPU.csdata,"",@progbits
; Kernel info:
; codeLenInByte = 4260
; NumSgprs: 18
; NumVgprs: 62
; ScratchSize: 0
; MemoryBound: 0
; FloatMode: 240
; IeeeMode: 1
; LDSByteSize: 0 bytes/workgroup (compile time only)
; SGPRBlocks: 2
; VGPRBlocks: 15
; NumSGPRsForWavesPerEU: 18
; NumVGPRsForWavesPerEU: 62
; Occupancy: 4
; WaveLimiterHint : 1
; COMPUTE_PGM_RSRC2:SCRATCH_EN: 0
; COMPUTE_PGM_RSRC2:USER_SGPR: 6
; COMPUTE_PGM_RSRC2:TRAP_HANDLER: 0
; COMPUTE_PGM_RSRC2:TGID_X_EN: 1
; COMPUTE_PGM_RSRC2:TGID_Y_EN: 0
; COMPUTE_PGM_RSRC2:TGID_Z_EN: 0
; COMPUTE_PGM_RSRC2:TIDIG_COMP_CNT: 0
	.type	__hip_cuid_2ca51ae82fbdcb41,@object ; @__hip_cuid_2ca51ae82fbdcb41
	.section	.bss,"aw",@nobits
	.globl	__hip_cuid_2ca51ae82fbdcb41
__hip_cuid_2ca51ae82fbdcb41:
	.byte	0                               ; 0x0
	.size	__hip_cuid_2ca51ae82fbdcb41, 1

	.ident	"AMD clang version 19.0.0git (https://github.com/RadeonOpenCompute/llvm-project roc-6.4.0 25133 c7fe45cf4b819c5991fe208aaa96edf142730f1d)"
	.section	".note.GNU-stack","",@progbits
	.addrsig
	.addrsig_sym __hip_cuid_2ca51ae82fbdcb41
	.amdgpu_metadata
---
amdhsa.kernels:
  - .args:
      - .actual_access:  read_only
        .address_space:  global
        .offset:         0
        .size:           8
        .value_kind:     global_buffer
      - .actual_access:  read_only
        .address_space:  global
        .offset:         8
        .size:           8
        .value_kind:     global_buffer
      - .actual_access:  read_only
        .address_space:  global
        .offset:         16
        .size:           8
        .value_kind:     global_buffer
      - .actual_access:  read_only
        .address_space:  global
        .offset:         24
        .size:           8
        .value_kind:     global_buffer
      - .offset:         32
        .size:           8
        .value_kind:     by_value
      - .actual_access:  read_only
        .address_space:  global
        .offset:         40
        .size:           8
        .value_kind:     global_buffer
      - .actual_access:  read_only
        .address_space:  global
        .offset:         48
        .size:           8
        .value_kind:     global_buffer
      - .offset:         56
        .size:           4
        .value_kind:     by_value
      - .actual_access:  read_only
        .address_space:  global
        .offset:         64
        .size:           8
        .value_kind:     global_buffer
      - .actual_access:  read_only
        .address_space:  global
        .offset:         72
        .size:           8
        .value_kind:     global_buffer
      - .actual_access:  read_only
        .address_space:  global
        .offset:         80
        .size:           8
        .value_kind:     global_buffer
      - .actual_access:  write_only
        .address_space:  global
        .offset:         88
        .size:           8
        .value_kind:     global_buffer
    .group_segment_fixed_size: 0
    .kernarg_segment_align: 8
    .kernarg_segment_size: 96
    .language:       OpenCL C
    .language_version:
      - 2
      - 0
    .max_flat_workgroup_size: 64
    .name:           fft_rtc_fwd_len72_factors_3_3_8_wgs_64_tpt_8_halfLds_dim1_sp_op_CI_CI_unitstride_sbrr_R2C_dirReg
    .private_segment_fixed_size: 0
    .sgpr_count:     18
    .sgpr_spill_count: 0
    .symbol:         fft_rtc_fwd_len72_factors_3_3_8_wgs_64_tpt_8_halfLds_dim1_sp_op_CI_CI_unitstride_sbrr_R2C_dirReg.kd
    .uniform_work_group_size: 1
    .uses_dynamic_stack: false
    .vgpr_count:     62
    .vgpr_spill_count: 0
    .wavefront_size: 64
amdhsa.target:   amdgcn-amd-amdhsa--gfx906
amdhsa.version:
  - 1
  - 2
...

	.end_amdgpu_metadata
